;; amdgpu-corpus repo=ROCm/rocFFT kind=compiled arch=gfx906 opt=O3
	.text
	.amdgcn_target "amdgcn-amd-amdhsa--gfx906"
	.amdhsa_code_object_version 6
	.protected	fft_rtc_back_len308_factors_11_7_4_wgs_44_tpt_44_sp_ip_CI_unitstride_sbrr_R2C_dirReg ; -- Begin function fft_rtc_back_len308_factors_11_7_4_wgs_44_tpt_44_sp_ip_CI_unitstride_sbrr_R2C_dirReg
	.globl	fft_rtc_back_len308_factors_11_7_4_wgs_44_tpt_44_sp_ip_CI_unitstride_sbrr_R2C_dirReg
	.p2align	8
	.type	fft_rtc_back_len308_factors_11_7_4_wgs_44_tpt_44_sp_ip_CI_unitstride_sbrr_R2C_dirReg,@function
fft_rtc_back_len308_factors_11_7_4_wgs_44_tpt_44_sp_ip_CI_unitstride_sbrr_R2C_dirReg: ; @fft_rtc_back_len308_factors_11_7_4_wgs_44_tpt_44_sp_ip_CI_unitstride_sbrr_R2C_dirReg
; %bb.0:
	s_load_dwordx2 s[2:3], s[4:5], 0x50
	s_load_dwordx4 s[8:11], s[4:5], 0x0
	s_load_dwordx2 s[12:13], s[4:5], 0x18
	v_mul_u32_u24_e32 v1, 0x5d2, v0
	v_add_u32_sdwa v5, s6, v1 dst_sel:DWORD dst_unused:UNUSED_PAD src0_sel:DWORD src1_sel:WORD_1
	v_mov_b32_e32 v3, 0
	s_waitcnt lgkmcnt(0)
	v_cmp_lt_u64_e64 s[0:1], s[10:11], 2
	v_mov_b32_e32 v1, 0
	v_mov_b32_e32 v6, v3
	s_and_b64 vcc, exec, s[0:1]
	v_mov_b32_e32 v2, 0
	s_cbranch_vccnz .LBB0_8
; %bb.1:
	s_load_dwordx2 s[0:1], s[4:5], 0x10
	s_add_u32 s6, s12, 8
	s_addc_u32 s7, s13, 0
	v_mov_b32_e32 v1, 0
	v_mov_b32_e32 v2, 0
	s_waitcnt lgkmcnt(0)
	s_add_u32 s14, s0, 8
	s_addc_u32 s15, s1, 0
	s_mov_b64 s[16:17], 1
.LBB0_2:                                ; =>This Inner Loop Header: Depth=1
	s_load_dwordx2 s[18:19], s[14:15], 0x0
                                        ; implicit-def: $vgpr7_vgpr8
	s_waitcnt lgkmcnt(0)
	v_or_b32_e32 v4, s19, v6
	v_cmp_ne_u64_e32 vcc, 0, v[3:4]
	s_and_saveexec_b64 s[0:1], vcc
	s_xor_b64 s[20:21], exec, s[0:1]
	s_cbranch_execz .LBB0_4
; %bb.3:                                ;   in Loop: Header=BB0_2 Depth=1
	v_cvt_f32_u32_e32 v4, s18
	v_cvt_f32_u32_e32 v7, s19
	s_sub_u32 s0, 0, s18
	s_subb_u32 s1, 0, s19
	v_mac_f32_e32 v4, 0x4f800000, v7
	v_rcp_f32_e32 v4, v4
	v_mul_f32_e32 v4, 0x5f7ffffc, v4
	v_mul_f32_e32 v7, 0x2f800000, v4
	v_trunc_f32_e32 v7, v7
	v_mac_f32_e32 v4, 0xcf800000, v7
	v_cvt_u32_f32_e32 v7, v7
	v_cvt_u32_f32_e32 v4, v4
	v_mul_lo_u32 v8, s0, v7
	v_mul_hi_u32 v9, s0, v4
	v_mul_lo_u32 v11, s1, v4
	v_mul_lo_u32 v10, s0, v4
	v_add_u32_e32 v8, v9, v8
	v_add_u32_e32 v8, v8, v11
	v_mul_hi_u32 v9, v4, v10
	v_mul_lo_u32 v11, v4, v8
	v_mul_hi_u32 v13, v4, v8
	v_mul_hi_u32 v12, v7, v10
	v_mul_lo_u32 v10, v7, v10
	v_mul_hi_u32 v14, v7, v8
	v_add_co_u32_e32 v9, vcc, v9, v11
	v_addc_co_u32_e32 v11, vcc, 0, v13, vcc
	v_mul_lo_u32 v8, v7, v8
	v_add_co_u32_e32 v9, vcc, v9, v10
	v_addc_co_u32_e32 v9, vcc, v11, v12, vcc
	v_addc_co_u32_e32 v10, vcc, 0, v14, vcc
	v_add_co_u32_e32 v8, vcc, v9, v8
	v_addc_co_u32_e32 v9, vcc, 0, v10, vcc
	v_add_co_u32_e32 v4, vcc, v4, v8
	v_addc_co_u32_e32 v7, vcc, v7, v9, vcc
	v_mul_lo_u32 v8, s0, v7
	v_mul_hi_u32 v9, s0, v4
	v_mul_lo_u32 v10, s1, v4
	v_mul_lo_u32 v11, s0, v4
	v_add_u32_e32 v8, v9, v8
	v_add_u32_e32 v8, v8, v10
	v_mul_lo_u32 v12, v4, v8
	v_mul_hi_u32 v13, v4, v11
	v_mul_hi_u32 v14, v4, v8
	;; [unrolled: 1-line block ×3, first 2 shown]
	v_mul_lo_u32 v11, v7, v11
	v_mul_hi_u32 v9, v7, v8
	v_add_co_u32_e32 v12, vcc, v13, v12
	v_addc_co_u32_e32 v13, vcc, 0, v14, vcc
	v_mul_lo_u32 v8, v7, v8
	v_add_co_u32_e32 v11, vcc, v12, v11
	v_addc_co_u32_e32 v10, vcc, v13, v10, vcc
	v_addc_co_u32_e32 v9, vcc, 0, v9, vcc
	v_add_co_u32_e32 v8, vcc, v10, v8
	v_addc_co_u32_e32 v9, vcc, 0, v9, vcc
	v_add_co_u32_e32 v4, vcc, v4, v8
	v_addc_co_u32_e32 v9, vcc, v7, v9, vcc
	v_mad_u64_u32 v[7:8], s[0:1], v5, v9, 0
	v_mul_hi_u32 v10, v5, v4
	v_add_co_u32_e32 v11, vcc, v10, v7
	v_addc_co_u32_e32 v12, vcc, 0, v8, vcc
	v_mad_u64_u32 v[7:8], s[0:1], v6, v4, 0
	v_mad_u64_u32 v[9:10], s[0:1], v6, v9, 0
	v_add_co_u32_e32 v4, vcc, v11, v7
	v_addc_co_u32_e32 v4, vcc, v12, v8, vcc
	v_addc_co_u32_e32 v7, vcc, 0, v10, vcc
	v_add_co_u32_e32 v4, vcc, v4, v9
	v_addc_co_u32_e32 v9, vcc, 0, v7, vcc
	v_mul_lo_u32 v10, s19, v4
	v_mul_lo_u32 v11, s18, v9
	v_mad_u64_u32 v[7:8], s[0:1], s18, v4, 0
	v_add3_u32 v8, v8, v11, v10
	v_sub_u32_e32 v10, v6, v8
	v_mov_b32_e32 v11, s19
	v_sub_co_u32_e32 v7, vcc, v5, v7
	v_subb_co_u32_e64 v10, s[0:1], v10, v11, vcc
	v_subrev_co_u32_e64 v11, s[0:1], s18, v7
	v_subbrev_co_u32_e64 v10, s[0:1], 0, v10, s[0:1]
	v_cmp_le_u32_e64 s[0:1], s19, v10
	v_cndmask_b32_e64 v12, 0, -1, s[0:1]
	v_cmp_le_u32_e64 s[0:1], s18, v11
	v_cndmask_b32_e64 v11, 0, -1, s[0:1]
	v_cmp_eq_u32_e64 s[0:1], s19, v10
	v_cndmask_b32_e64 v10, v12, v11, s[0:1]
	v_add_co_u32_e64 v11, s[0:1], 2, v4
	v_addc_co_u32_e64 v12, s[0:1], 0, v9, s[0:1]
	v_add_co_u32_e64 v13, s[0:1], 1, v4
	v_addc_co_u32_e64 v14, s[0:1], 0, v9, s[0:1]
	v_subb_co_u32_e32 v8, vcc, v6, v8, vcc
	v_cmp_ne_u32_e64 s[0:1], 0, v10
	v_cmp_le_u32_e32 vcc, s19, v8
	v_cndmask_b32_e64 v10, v14, v12, s[0:1]
	v_cndmask_b32_e64 v12, 0, -1, vcc
	v_cmp_le_u32_e32 vcc, s18, v7
	v_cndmask_b32_e64 v7, 0, -1, vcc
	v_cmp_eq_u32_e32 vcc, s19, v8
	v_cndmask_b32_e32 v7, v12, v7, vcc
	v_cmp_ne_u32_e32 vcc, 0, v7
	v_cndmask_b32_e64 v7, v13, v11, s[0:1]
	v_cndmask_b32_e32 v8, v9, v10, vcc
	v_cndmask_b32_e32 v7, v4, v7, vcc
.LBB0_4:                                ;   in Loop: Header=BB0_2 Depth=1
	s_andn2_saveexec_b64 s[0:1], s[20:21]
	s_cbranch_execz .LBB0_6
; %bb.5:                                ;   in Loop: Header=BB0_2 Depth=1
	v_cvt_f32_u32_e32 v4, s18
	s_sub_i32 s20, 0, s18
	v_rcp_iflag_f32_e32 v4, v4
	v_mul_f32_e32 v4, 0x4f7ffffe, v4
	v_cvt_u32_f32_e32 v4, v4
	v_mul_lo_u32 v7, s20, v4
	v_mul_hi_u32 v7, v4, v7
	v_add_u32_e32 v4, v4, v7
	v_mul_hi_u32 v4, v5, v4
	v_mul_lo_u32 v7, v4, s18
	v_add_u32_e32 v8, 1, v4
	v_sub_u32_e32 v7, v5, v7
	v_subrev_u32_e32 v9, s18, v7
	v_cmp_le_u32_e32 vcc, s18, v7
	v_cndmask_b32_e32 v7, v7, v9, vcc
	v_cndmask_b32_e32 v4, v4, v8, vcc
	v_add_u32_e32 v8, 1, v4
	v_cmp_le_u32_e32 vcc, s18, v7
	v_cndmask_b32_e32 v7, v4, v8, vcc
	v_mov_b32_e32 v8, v3
.LBB0_6:                                ;   in Loop: Header=BB0_2 Depth=1
	s_or_b64 exec, exec, s[0:1]
	v_mul_lo_u32 v4, v8, s18
	v_mul_lo_u32 v11, v7, s19
	v_mad_u64_u32 v[9:10], s[0:1], v7, s18, 0
	s_load_dwordx2 s[0:1], s[6:7], 0x0
	s_add_u32 s16, s16, 1
	v_add3_u32 v4, v10, v11, v4
	v_sub_co_u32_e32 v5, vcc, v5, v9
	v_subb_co_u32_e32 v4, vcc, v6, v4, vcc
	s_waitcnt lgkmcnt(0)
	v_mul_lo_u32 v4, s0, v4
	v_mul_lo_u32 v6, s1, v5
	v_mad_u64_u32 v[1:2], s[0:1], s0, v5, v[1:2]
	s_addc_u32 s17, s17, 0
	s_add_u32 s6, s6, 8
	v_add3_u32 v2, v6, v2, v4
	v_mov_b32_e32 v4, s10
	v_mov_b32_e32 v5, s11
	s_addc_u32 s7, s7, 0
	v_cmp_ge_u64_e32 vcc, s[16:17], v[4:5]
	s_add_u32 s14, s14, 8
	s_addc_u32 s15, s15, 0
	s_cbranch_vccnz .LBB0_9
; %bb.7:                                ;   in Loop: Header=BB0_2 Depth=1
	v_mov_b32_e32 v5, v7
	v_mov_b32_e32 v6, v8
	s_branch .LBB0_2
.LBB0_8:
	v_mov_b32_e32 v8, v6
	v_mov_b32_e32 v7, v5
.LBB0_9:
	s_lshl_b64 s[0:1], s[10:11], 3
	s_add_u32 s0, s12, s0
	s_addc_u32 s1, s13, s1
	s_load_dwordx2 s[6:7], s[0:1], 0x0
	s_load_dwordx2 s[10:11], s[4:5], 0x20
	s_waitcnt lgkmcnt(0)
	v_mad_u64_u32 v[1:2], s[0:1], s6, v7, v[1:2]
	s_mov_b32 s0, 0x5d1745e
	v_mul_lo_u32 v3, s6, v8
	v_mul_lo_u32 v4, s7, v7
	v_mul_hi_u32 v5, v0, s0
	v_cmp_gt_u64_e32 vcc, s[10:11], v[7:8]
	v_add3_u32 v2, v4, v2, v3
	v_mul_u32_u24_e32 v3, 44, v5
	v_sub_u32_e32 v24, v0, v3
	v_lshlrev_b64 v[26:27], 3, v[1:2]
	v_lshl_add_u32 v28, v24, 3, 0
	s_and_saveexec_b64 s[4:5], vcc
	s_cbranch_execz .LBB0_11
; %bb.10:
	v_mov_b32_e32 v25, 0
	v_mov_b32_e32 v0, s3
	v_add_co_u32_e64 v2, s[0:1], s2, v26
	v_addc_co_u32_e64 v3, s[0:1], v0, v27, s[0:1]
	v_lshlrev_b64 v[0:1], 3, v[24:25]
	v_add_co_u32_e64 v0, s[0:1], v2, v0
	v_addc_co_u32_e64 v1, s[0:1], v3, v1, s[0:1]
	global_load_dwordx2 v[2:3], v[0:1], off
	global_load_dwordx2 v[4:5], v[0:1], off offset:352
	global_load_dwordx2 v[6:7], v[0:1], off offset:704
	global_load_dwordx2 v[8:9], v[0:1], off offset:1056
	global_load_dwordx2 v[10:11], v[0:1], off offset:1408
	global_load_dwordx2 v[12:13], v[0:1], off offset:1760
	global_load_dwordx2 v[14:15], v[0:1], off offset:2112
	s_waitcnt vmcnt(5)
	ds_write2_b64 v28, v[2:3], v[4:5] offset1:44
	s_waitcnt vmcnt(3)
	ds_write2_b64 v28, v[6:7], v[8:9] offset0:88 offset1:132
	s_waitcnt vmcnt(1)
	ds_write2_b64 v28, v[10:11], v[12:13] offset0:176 offset1:220
	s_waitcnt vmcnt(0)
	ds_write_b64 v28, v[14:15] offset:2112
.LBB0_11:
	s_or_b64 exec, exec, s[4:5]
	s_waitcnt lgkmcnt(0)
	; wave barrier
	s_waitcnt lgkmcnt(0)
	ds_read2_b64 v[4:7], v28 offset1:28
	ds_read_b64 v[0:1], v28 offset:2240
	ds_read2_b64 v[20:23], v28 offset0:56 offset1:84
	ds_read2_b64 v[8:11], v28 offset0:224 offset1:252
	s_mov_b32 s6, 0xbf27a4f4
	s_mov_b32 s7, 0xbe11bafb
	s_waitcnt lgkmcnt(2)
	v_sub_f32_e32 v38, v7, v1
	v_add_f32_e32 v25, v0, v6
	v_mul_f32_e32 v48, 0xbf4178ce, v38
	s_waitcnt lgkmcnt(0)
	v_sub_f32_e32 v39, v21, v11
	v_fma_f32 v2, v25, s6, -v48
	v_add_f32_e32 v29, v10, v20
	v_mul_f32_e32 v49, 0x3f7d64f0, v39
	v_add_f32_e32 v41, v1, v7
	v_add_f32_e32 v2, v4, v2
	v_fma_f32 v3, v29, s7, -v49
	v_mul_f32_e32 v51, 0xbf27a4f4, v41
	v_add_f32_e32 v42, v11, v21
	v_add_f32_e32 v2, v3, v2
	v_sub_f32_e32 v31, v6, v0
	v_mov_b32_e32 v3, v51
	v_mul_f32_e32 v52, 0xbe11bafb, v42
	v_fmac_f32_e32 v3, 0xbf4178ce, v31
	v_sub_f32_e32 v32, v20, v10
	v_mov_b32_e32 v12, v52
	v_sub_f32_e32 v40, v23, v9
	v_add_f32_e32 v3, v5, v3
	v_fmac_f32_e32 v12, 0x3f7d64f0, v32
	s_mov_b32 s10, 0x3f575c64
	v_add_f32_e32 v30, v8, v22
	v_mul_f32_e32 v50, 0xbf0a6770, v40
	v_add_f32_e32 v3, v12, v3
	v_fma_f32 v12, v30, s10, -v50
	v_add_f32_e32 v2, v12, v2
	ds_read2_b64 v[16:19], v28 offset0:112 offset1:140
	ds_read2_b64 v[12:15], v28 offset0:168 offset1:196
	v_add_f32_e32 v44, v9, v23
	v_mul_f32_e32 v53, 0x3f575c64, v44
	v_sub_f32_e32 v33, v22, v8
	v_mov_b32_e32 v34, v53
	v_fmac_f32_e32 v34, 0xbf0a6770, v33
	s_waitcnt lgkmcnt(0)
	v_sub_f32_e32 v43, v17, v15
	v_add_f32_e32 v3, v34, v3
	s_mov_b32 s11, 0xbf75a155
	v_add_f32_e32 v34, v14, v16
	v_mul_f32_e32 v54, 0xbe903f40, v43
	v_add_f32_e32 v47, v15, v17
	v_fma_f32 v35, v34, s11, -v54
	v_mul_f32_e32 v55, 0xbf75a155, v47
	v_add_f32_e32 v2, v35, v2
	v_sub_f32_e32 v35, v16, v14
	v_mov_b32_e32 v36, v55
	v_add_f32_e32 v45, v13, v19
	v_fmac_f32_e32 v36, 0xbe903f40, v35
	v_mul_f32_e32 v57, 0x3ed4b147, v45
	v_sub_f32_e32 v46, v19, v13
	v_add_f32_e32 v3, v36, v3
	s_mov_b32 s12, 0x3ed4b147
	v_sub_f32_e32 v37, v18, v12
	v_mov_b32_e32 v58, v57
	v_add_f32_e32 v36, v12, v18
	v_mul_f32_e32 v56, 0x3f68dda4, v46
	v_fmac_f32_e32 v58, 0x3f68dda4, v37
	v_fma_f32 v59, v36, s12, -v56
	v_add_f32_e32 v2, v59, v2
	v_add_f32_e32 v3, v58, v3
	v_cmp_gt_u32_e64 s[0:1], 28, v24
	s_waitcnt lgkmcnt(0)
	; wave barrier
	s_and_saveexec_b64 s[4:5], s[0:1]
	s_cbranch_execz .LBB0_13
; %bb.12:
	v_add_f32_e32 v6, v4, v6
	v_add_f32_e32 v7, v5, v7
	;; [unrolled: 1-line block ×3, first 2 shown]
	v_mul_f32_e32 v20, 0xbe903f40, v31
	v_add_f32_e32 v7, v7, v21
	v_add_f32_e32 v59, v6, v22
	v_mov_b32_e32 v6, v20
	v_mul_f32_e32 v21, 0x3f0a6770, v32
	v_add_f32_e32 v58, v7, v23
	v_fmac_f32_e32 v6, 0xbf75a155, v41
	v_mov_b32_e32 v7, v21
	v_add_f32_e32 v6, v5, v6
	v_fmac_f32_e32 v7, 0x3f575c64, v42
	v_mul_f32_e32 v22, 0xbf4178ce, v33
	v_add_f32_e32 v6, v7, v6
	v_mov_b32_e32 v7, v22
	v_fmac_f32_e32 v7, 0xbf27a4f4, v44
	v_mul_f32_e32 v23, 0x3f68dda4, v35
	v_add_f32_e32 v6, v7, v6
	v_mov_b32_e32 v7, v23
	v_fmac_f32_e32 v7, 0x3ed4b147, v47
	v_mul_f32_e32 v60, 0xbe903f40, v38
	v_add_f32_e32 v6, v7, v6
	v_fma_f32 v7, v25, s11, -v60
	v_mul_f32_e32 v61, 0x3f0a6770, v39
	v_add_f32_e32 v7, v4, v7
	v_fma_f32 v62, v29, s10, -v61
	v_fma_f32 v20, v41, s11, -v20
	v_add_f32_e32 v7, v62, v7
	v_mul_f32_e32 v62, 0xbf4178ce, v40
	v_add_f32_e32 v20, v5, v20
	v_fma_f32 v21, v42, s10, -v21
	v_fma_f32 v63, v30, s6, -v62
	v_add_f32_e32 v20, v21, v20
	v_fma_f32 v21, v44, s6, -v22
	v_add_f32_e32 v7, v63, v7
	v_mul_f32_e32 v63, 0x3f68dda4, v43
	v_add_f32_e32 v20, v21, v20
	v_fma_f32 v21, v47, s12, -v23
	v_fmac_f32_e32 v60, 0xbf75a155, v25
	v_fma_f32 v64, v34, s12, -v63
	v_mul_f32_e32 v65, 0xbf7d64f0, v37
	v_add_f32_e32 v20, v21, v20
	v_add_f32_e32 v21, v4, v60
	v_fmac_f32_e32 v61, 0x3f575c64, v29
	v_add_f32_e32 v64, v64, v7
	v_mov_b32_e32 v7, v65
	v_add_f32_e32 v21, v61, v21
	v_fmac_f32_e32 v62, 0xbf27a4f4, v30
	v_fmac_f32_e32 v7, 0xbe11bafb, v45
	v_mul_f32_e32 v66, 0xbf7d64f0, v46
	v_add_f32_e32 v21, v62, v21
	v_fmac_f32_e32 v63, 0x3ed4b147, v34
	v_add_f32_e32 v7, v7, v6
	v_fma_f32 v6, v36, s7, -v66
	v_add_f32_e32 v22, v63, v21
	v_fma_f32 v21, v45, s7, -v65
	v_fmac_f32_e32 v66, 0xbe11bafb, v36
	v_add_f32_e32 v21, v21, v20
	v_add_f32_e32 v20, v66, v22
	v_mul_f32_e32 v22, 0xbf4178ce, v31
	v_sub_f32_e32 v22, v51, v22
	v_mul_f32_e32 v51, 0xbf27a4f4, v25
	v_mul_f32_e32 v23, 0x3f7d64f0, v32
	v_add_f32_e32 v48, v51, v48
	v_mul_f32_e32 v51, 0xbe11bafb, v29
	v_sub_f32_e32 v23, v52, v23
	v_add_f32_e32 v22, v5, v22
	v_add_f32_e32 v49, v51, v49
	;; [unrolled: 1-line block ×4, first 2 shown]
	v_mul_f32_e32 v23, 0xbf0a6770, v33
	v_add_f32_e32 v48, v49, v48
	v_mul_f32_e32 v49, 0x3f575c64, v30
	v_sub_f32_e32 v23, v53, v23
	v_add_f32_e32 v49, v49, v50
	v_add_f32_e32 v22, v23, v22
	v_mul_f32_e32 v23, 0xbe903f40, v35
	v_add_f32_e32 v48, v49, v48
	v_mul_f32_e32 v49, 0xbf75a155, v34
	v_sub_f32_e32 v23, v55, v23
	v_add_f32_e32 v49, v49, v54
	v_add_f32_e32 v22, v23, v22
	v_mul_f32_e32 v23, 0x3f68dda4, v37
	v_add_f32_e32 v48, v49, v48
	v_mul_f32_e32 v49, 0x3ed4b147, v36
	v_add_f32_e32 v16, v59, v16
	v_sub_f32_e32 v23, v57, v23
	v_add_f32_e32 v49, v49, v56
	v_add_f32_e32 v17, v58, v17
	;; [unrolled: 1-line block ×3, first 2 shown]
	v_mul_f32_e32 v18, 0xbe11bafb, v41
	v_add_f32_e32 v23, v23, v22
	v_add_f32_e32 v22, v49, v48
	v_add_f32_e32 v17, v17, v19
	v_mov_b32_e32 v19, v18
	v_mul_f32_e32 v48, 0xbf75a155, v42
	v_fmac_f32_e32 v19, 0x3f7d64f0, v31
	v_mov_b32_e32 v49, v48
	v_add_f32_e32 v19, v5, v19
	v_fmac_f32_e32 v49, 0xbe903f40, v32
	v_add_f32_e32 v19, v49, v19
	v_mul_f32_e32 v49, 0x3ed4b147, v44
	v_add_f32_e32 v12, v16, v12
	v_mov_b32_e32 v50, v49
	v_add_f32_e32 v13, v17, v13
	v_add_f32_e32 v12, v12, v14
	v_mul_f32_e32 v14, 0x3f575c64, v47
	v_fmac_f32_e32 v50, 0xbf68dda4, v33
	v_add_f32_e32 v13, v13, v15
	v_mov_b32_e32 v15, v14
	v_add_f32_e32 v19, v50, v19
	v_fmac_f32_e32 v15, 0x3f0a6770, v35
	v_mul_f32_e32 v17, 0xbf7d64f0, v38
	v_add_f32_e32 v15, v15, v19
	v_mov_b32_e32 v19, v17
	v_add_f32_e32 v9, v13, v9
	v_mul_f32_e32 v50, 0x3e903f40, v39
	v_fmac_f32_e32 v19, 0xbe11bafb, v25
	v_add_f32_e32 v11, v9, v11
	v_mov_b32_e32 v9, v50
	v_add_f32_e32 v19, v4, v19
	v_fmac_f32_e32 v9, 0xbf75a155, v29
	v_add_f32_e32 v8, v12, v8
	v_add_f32_e32 v9, v9, v19
	v_mul_f32_e32 v19, 0x3f68dda4, v40
	v_add_f32_e32 v8, v8, v10
	v_mov_b32_e32 v10, v19
	v_mul_f32_e32 v16, 0xbf27a4f4, v45
	v_fmac_f32_e32 v10, 0x3ed4b147, v30
	v_add_f32_e32 v10, v10, v9
	v_mov_b32_e32 v9, v16
	v_fmac_f32_e32 v9, 0x3f4178ce, v37
	v_add_f32_e32 v9, v9, v15
	v_mul_f32_e32 v15, 0xbf0a6770, v43
	v_add_f32_e32 v0, v8, v0
	v_mov_b32_e32 v8, v15
	v_fmac_f32_e32 v8, 0x3f575c64, v34
	v_mul_f32_e32 v51, 0xbf4178ce, v46
	v_add_f32_e32 v8, v8, v10
	v_mov_b32_e32 v10, v51
	v_fmac_f32_e32 v10, 0xbf27a4f4, v36
	v_mul_f32_e32 v52, 0x3ed4b147, v41
	v_add_f32_e32 v8, v10, v8
	v_mov_b32_e32 v10, v52
	v_mul_f32_e32 v53, 0xbf27a4f4, v42
	v_add_f32_e32 v1, v11, v1
	v_fmac_f32_e32 v10, 0x3f68dda4, v31
	v_mov_b32_e32 v11, v53
	v_add_f32_e32 v10, v5, v10
	v_fmac_f32_e32 v11, 0x3f4178ce, v32
	v_mul_f32_e32 v54, 0xbf75a155, v44
	v_add_f32_e32 v10, v11, v10
	v_mov_b32_e32 v11, v54
	v_fmac_f32_e32 v11, 0xbe903f40, v33
	v_mul_f32_e32 v55, 0xbe11bafb, v47
	v_add_f32_e32 v10, v11, v10
	v_mov_b32_e32 v11, v55
	;; [unrolled: 4-line block ×3, first 2 shown]
	v_mul_f32_e32 v57, 0xbf4178ce, v39
	v_fmac_f32_e32 v11, 0x3ed4b147, v25
	v_mov_b32_e32 v12, v57
	v_add_f32_e32 v11, v4, v11
	v_fmac_f32_e32 v12, 0xbf27a4f4, v29
	v_mul_f32_e32 v58, 0x3e903f40, v40
	v_add_f32_e32 v11, v12, v11
	v_mov_b32_e32 v12, v58
	v_fmac_f32_e32 v12, 0xbf75a155, v30
	v_mul_f32_e32 v59, 0x3f7d64f0, v43
	v_add_f32_e32 v11, v12, v11
	v_mov_b32_e32 v12, v59
	;; [unrolled: 4-line block ×4, first 2 shown]
	v_fmac_f32_e32 v10, 0x3f575c64, v36
	v_mul_f32_e32 v41, 0x3f575c64, v41
	v_fmac_f32_e32 v18, 0xbf7d64f0, v31
	v_add_f32_e32 v10, v10, v12
	v_mov_b32_e32 v12, v41
	v_mul_f32_e32 v42, 0x3ed4b147, v42
	v_add_f32_e32 v18, v5, v18
	v_fmac_f32_e32 v48, 0x3e903f40, v32
	v_fmac_f32_e32 v12, 0x3f0a6770, v31
	v_mov_b32_e32 v13, v42
	v_add_f32_e32 v18, v48, v18
	v_fmac_f32_e32 v49, 0x3f68dda4, v33
	v_add_f32_e32 v12, v5, v12
	v_fmac_f32_e32 v13, 0x3f68dda4, v32
	v_mul_f32_e32 v44, 0xbe11bafb, v44
	v_add_f32_e32 v18, v49, v18
	v_fmac_f32_e32 v14, 0xbf0a6770, v35
	v_fma_f32 v17, v25, s7, -v17
	v_add_f32_e32 v12, v13, v12
	v_mov_b32_e32 v13, v44
	v_add_f32_e32 v14, v14, v18
	v_add_f32_e32 v17, v4, v17
	v_fma_f32 v18, v29, s11, -v50
	v_fmac_f32_e32 v13, 0x3f7d64f0, v33
	v_mul_f32_e32 v47, 0xbf27a4f4, v47
	v_add_f32_e32 v17, v18, v17
	v_fma_f32 v18, v30, s12, -v19
	v_add_f32_e32 v12, v13, v12
	v_mov_b32_e32 v13, v47
	v_add_f32_e32 v17, v18, v17
	v_fma_f32 v15, v34, s10, -v15
	v_fmac_f32_e32 v16, 0xbf4178ce, v37
	v_fmac_f32_e32 v52, 0xbf68dda4, v31
	;; [unrolled: 1-line block ×3, first 2 shown]
	v_mul_f32_e32 v38, 0xbf0a6770, v38
	v_add_f32_e32 v17, v15, v17
	v_add_f32_e32 v15, v16, v14
	;; [unrolled: 1-line block ×3, first 2 shown]
	v_fmac_f32_e32 v53, 0xbf4178ce, v32
	v_add_f32_e32 v12, v13, v12
	v_mov_b32_e32 v13, v38
	v_mul_f32_e32 v39, 0xbf68dda4, v39
	v_fma_f32 v14, v36, s6, -v51
	v_add_f32_e32 v16, v53, v16
	v_fmac_f32_e32 v54, 0x3e903f40, v33
	v_fmac_f32_e32 v13, 0x3f575c64, v25
	v_mov_b32_e32 v62, v39
	v_add_f32_e32 v14, v14, v17
	v_add_f32_e32 v16, v54, v16
	v_fmac_f32_e32 v55, 0x3f7d64f0, v35
	v_fma_f32 v17, v25, s12, -v56
	v_add_f32_e32 v13, v4, v13
	v_fmac_f32_e32 v62, 0x3ed4b147, v29
	v_mul_f32_e32 v40, 0xbf7d64f0, v40
	v_add_f32_e32 v16, v55, v16
	v_add_f32_e32 v17, v4, v17
	v_fma_f32 v18, v29, s6, -v57
	v_fmac_f32_e32 v60, 0x3f0a6770, v37
	v_add_f32_e32 v13, v62, v13
	v_mov_b32_e32 v62, v40
	v_add_f32_e32 v18, v18, v17
	v_add_f32_e32 v17, v60, v16
	v_fma_f32 v16, v30, s11, -v58
	v_fmac_f32_e32 v62, 0xbe11bafb, v30
	v_mul_f32_e32 v43, 0xbf4178ce, v43
	v_add_f32_e32 v16, v16, v18
	v_fma_f32 v18, v34, s7, -v59
	v_add_f32_e32 v13, v62, v13
	v_mov_b32_e32 v62, v43
	v_add_f32_e32 v16, v18, v16
	v_fma_f32 v18, v36, s10, -v61
	v_fmac_f32_e32 v62, 0xbf27a4f4, v34
	v_mul_f32_e32 v45, 0xbf75a155, v45
	v_add_f32_e32 v16, v18, v16
	v_fma_f32 v18, v25, s10, -v38
	v_add_f32_e32 v62, v62, v13
	v_mov_b32_e32 v13, v45
	v_fmac_f32_e32 v41, 0xbf0a6770, v31
	v_add_f32_e32 v4, v4, v18
	v_fma_f32 v18, v29, s12, -v39
	v_fmac_f32_e32 v13, 0x3e903f40, v37
	v_mul_f32_e32 v46, 0xbe903f40, v46
	v_add_f32_e32 v5, v5, v41
	v_fmac_f32_e32 v42, 0xbf68dda4, v32
	v_add_f32_e32 v4, v18, v4
	v_fma_f32 v18, v30, s7, -v40
	v_add_f32_e32 v13, v13, v12
	v_mov_b32_e32 v12, v46
	v_add_f32_e32 v5, v42, v5
	v_fmac_f32_e32 v44, 0xbf7d64f0, v33
	v_add_f32_e32 v4, v18, v4
	v_fma_f32 v18, v34, s6, -v43
	v_fmac_f32_e32 v12, 0xbf75a155, v36
	v_add_f32_e32 v5, v44, v5
	v_fmac_f32_e32 v47, 0xbf4178ce, v35
	v_add_f32_e32 v4, v18, v4
	v_fma_f32 v18, v36, s11, -v46
	s_movk_i32 s0, 0x50
	v_add_f32_e32 v12, v12, v62
	v_add_f32_e32 v5, v47, v5
	v_fmac_f32_e32 v45, 0xbe903f40, v37
	v_add_f32_e32 v4, v18, v4
	v_mad_u32_u24 v18, v24, s0, v28
	v_add_f32_e32 v6, v6, v64
	v_add_f32_e32 v5, v45, v5
	ds_write2_b64 v18, v[0:1], v[12:13] offset1:1
	ds_write2_b64 v18, v[10:11], v[8:9] offset0:2 offset1:3
	ds_write2_b64 v18, v[22:23], v[20:21] offset0:4 offset1:5
	;; [unrolled: 1-line block ×4, first 2 shown]
	ds_write_b64 v18, v[4:5] offset:80
.LBB0_13:
	s_or_b64 exec, exec, s[4:5]
	s_movk_i32 s0, 0x75
	v_mul_lo_u16_sdwa v0, v24, s0 dst_sel:DWORD dst_unused:UNUSED_PAD src0_sel:BYTE_0 src1_sel:DWORD
	v_sub_u16_sdwa v1, v24, v0 dst_sel:DWORD dst_unused:UNUSED_PAD src0_sel:DWORD src1_sel:BYTE_1
	v_lshrrev_b16_e32 v1, 1, v1
	v_and_b32_e32 v1, 0x7f, v1
	v_add_u16_sdwa v0, v1, v0 dst_sel:DWORD dst_unused:UNUSED_PAD src0_sel:DWORD src1_sel:BYTE_1
	v_lshrrev_b16_e32 v25, 3, v0
	v_mul_lo_u16_e32 v0, 11, v25
	v_sub_u16_e32 v33, v24, v0
	v_mov_b32_e32 v0, 6
	v_mul_u32_u24_sdwa v0, v33, v0 dst_sel:DWORD dst_unused:UNUSED_PAD src0_sel:BYTE_0 src1_sel:DWORD
	v_lshlrev_b32_e32 v0, 3, v0
	s_waitcnt lgkmcnt(0)
	; wave barrier
	s_waitcnt lgkmcnt(0)
	global_load_dwordx4 v[4:7], v0, s[8:9]
	global_load_dwordx4 v[8:11], v0, s[8:9] offset:16
	global_load_dwordx4 v[12:15], v0, s[8:9] offset:32
	ds_read2_b64 v[16:19], v28 offset1:44
	ds_read2_b64 v[20:23], v28 offset0:88 offset1:132
	ds_read2_b64 v[29:32], v28 offset0:176 offset1:220
	ds_read_b64 v[0:1], v28 offset:2112
	s_mov_b32 s1, 0x3f3bfb3b
	s_mov_b32 s4, 0xbf3bfb3b
	;; [unrolled: 1-line block ×3, first 2 shown]
	s_waitcnt lgkmcnt(0)
	; wave barrier
	s_waitcnt vmcnt(2) lgkmcnt(0)
	v_mul_f32_e32 v34, v5, v19
	v_mul_f32_e32 v5, v5, v18
	;; [unrolled: 1-line block ×4, first 2 shown]
	s_waitcnt vmcnt(1)
	v_mul_f32_e32 v36, v9, v23
	v_mul_f32_e32 v9, v9, v22
	s_waitcnt vmcnt(0)
	v_mul_f32_e32 v38, v13, v32
	v_mul_f32_e32 v13, v13, v31
	;; [unrolled: 1-line block ×6, first 2 shown]
	v_fmac_f32_e32 v34, v4, v18
	v_fma_f32 v4, v4, v19, -v5
	v_fmac_f32_e32 v35, v6, v20
	v_fma_f32 v5, v6, v21, -v7
	;; [unrolled: 2-line block ×6, first 2 shown]
	v_add_f32_e32 v1, v34, v39
	v_add_f32_e32 v9, v4, v0
	v_sub_f32_e32 v0, v4, v0
	v_add_f32_e32 v4, v35, v38
	v_add_f32_e32 v11, v5, v8
	v_sub_f32_e32 v12, v35, v38
	v_sub_f32_e32 v5, v5, v8
	v_add_f32_e32 v8, v36, v37
	v_add_f32_e32 v13, v6, v7
	v_sub_f32_e32 v14, v37, v36
	;; [unrolled: 4-line block ×3, first 2 shown]
	v_sub_f32_e32 v18, v4, v1
	v_sub_f32_e32 v19, v11, v9
	;; [unrolled: 1-line block ×6, first 2 shown]
	v_add_f32_e32 v20, v14, v12
	v_add_f32_e32 v21, v6, v5
	;; [unrolled: 1-line block ×4, first 2 shown]
	v_sub_f32_e32 v22, v14, v12
	v_sub_f32_e32 v23, v6, v5
	;; [unrolled: 1-line block ×6, first 2 shown]
	v_add_f32_e32 v10, v20, v10
	v_add_f32_e32 v0, v21, v0
	v_mul_f32_e32 v1, 0x3f4a47b2, v1
	v_mul_f32_e32 v15, 0x3f4a47b2, v9
	;; [unrolled: 1-line block ×4, first 2 shown]
	v_add_f32_e32 v8, v7, v16
	v_add_f32_e32 v9, v13, v17
	v_mul_f32_e32 v22, 0x3f08b237, v22
	v_mul_f32_e32 v23, 0x3f08b237, v23
	v_fma_f32 v16, v18, s1, -v20
	v_fma_f32 v17, v19, s1, -v21
	;; [unrolled: 1-line block ×3, first 2 shown]
	v_fmac_f32_e32 v1, 0x3d64c772, v4
	v_fma_f32 v4, v19, s4, -v15
	v_mov_b32_e32 v19, v8
	v_mov_b32_e32 v20, v9
	v_mul_f32_e32 v30, 0xbf5ff5aa, v5
	v_fmac_f32_e32 v19, 0xbf955555, v7
	v_fmac_f32_e32 v20, 0xbf955555, v13
	v_fma_f32 v7, v12, s0, -v22
	v_fma_f32 v5, v5, s0, -v23
	v_mul_f32_e32 v29, 0xbf5ff5aa, v12
	v_fmac_f32_e32 v15, 0x3d64c772, v11
	s_mov_b32 s0, 0x3eae86e6
	v_add_f32_e32 v16, v16, v19
	v_add_f32_e32 v17, v17, v20
	v_fmac_f32_e32 v7, 0xbee1c552, v10
	v_fmac_f32_e32 v5, 0xbee1c552, v0
	v_fmac_f32_e32 v22, 0xbeae86e6, v14
	v_fmac_f32_e32 v23, 0xbeae86e6, v6
	v_fma_f32 v21, v14, s0, -v29
	v_fma_f32 v6, v6, s0, -v30
	v_add_f32_e32 v1, v1, v19
	v_add_f32_e32 v29, v15, v20
	;; [unrolled: 1-line block ×4, first 2 shown]
	v_sub_f32_e32 v14, v16, v5
	v_add_f32_e32 v15, v7, v17
	v_add_f32_e32 v4, v5, v16
	v_sub_f32_e32 v5, v17, v7
	v_mov_b32_e32 v17, 3
	v_fmac_f32_e32 v22, 0xbee1c552, v10
	v_fmac_f32_e32 v23, 0xbee1c552, v0
	;; [unrolled: 1-line block ×4, first 2 shown]
	v_mul_u32_u24_e32 v16, 0x268, v25
	v_lshlrev_b32_sdwa v17, v17, v33 dst_sel:DWORD dst_unused:UNUSED_PAD src0_sel:DWORD src1_sel:BYTE_0
	v_add_f32_e32 v10, v23, v1
	v_sub_f32_e32 v11, v29, v22
	v_add_f32_e32 v12, v6, v18
	v_sub_f32_e32 v13, v19, v21
	v_add3_u32 v16, 0, v16, v17
	v_sub_f32_e32 v6, v18, v6
	v_add_f32_e32 v7, v21, v19
	v_sub_f32_e32 v0, v1, v23
	v_add_f32_e32 v1, v22, v29
	ds_write2_b64 v16, v[8:9], v[10:11] offset1:11
	ds_write2_b64 v16, v[12:13], v[14:15] offset0:22 offset1:33
	ds_write2_b64 v16, v[4:5], v[6:7] offset0:44 offset1:55
	ds_write_b64 v16, v[0:1] offset:528
	s_waitcnt lgkmcnt(0)
	; wave barrier
	s_waitcnt lgkmcnt(0)
	ds_read2_b64 v[8:11], v28 offset1:77
	ds_read2_b64 v[12:15], v28 offset0:154 offset1:231
	v_cmp_gt_u32_e64 s[0:1], 33, v24
	s_and_saveexec_b64 s[4:5], s[0:1]
	s_cbranch_execz .LBB0_15
; %bb.14:
	v_add_u32_e32 v0, 0x400, v28
	ds_read2_b64 v[4:7], v28 offset0:44 offset1:121
	ds_read2_b64 v[0:3], v0 offset0:70 offset1:147
.LBB0_15:
	s_or_b64 exec, exec, s[4:5]
	v_mul_u32_u24_e32 v16, 3, v24
	v_lshlrev_b32_e32 v22, 3, v16
	global_load_dwordx4 v[16:19], v22, s[8:9] offset:528
	global_load_dwordx2 v[20:21], v22, s[8:9] offset:544
	s_waitcnt lgkmcnt(0)
	; wave barrier
	s_waitcnt vmcnt(1) lgkmcnt(0)
	v_mul_f32_e32 v22, v17, v11
	v_mul_f32_e32 v17, v17, v10
	;; [unrolled: 1-line block ×4, first 2 shown]
	s_waitcnt vmcnt(0)
	v_mul_f32_e32 v25, v21, v15
	v_mul_f32_e32 v21, v21, v14
	v_fmac_f32_e32 v22, v16, v10
	v_fma_f32 v10, v16, v11, -v17
	v_fmac_f32_e32 v23, v18, v12
	v_fma_f32 v11, v18, v13, -v19
	;; [unrolled: 2-line block ×3, first 2 shown]
	v_sub_f32_e32 v13, v8, v23
	v_sub_f32_e32 v14, v9, v11
	;; [unrolled: 1-line block ×4, first 2 shown]
	v_fma_f32 v15, v8, 2.0, -v13
	v_fma_f32 v16, v9, 2.0, -v14
	;; [unrolled: 1-line block ×4, first 2 shown]
	v_add_f32_e32 v8, v13, v12
	v_sub_f32_e32 v9, v14, v11
	v_sub_f32_e32 v10, v15, v17
	;; [unrolled: 1-line block ×3, first 2 shown]
	v_fma_f32 v12, v13, 2.0, -v8
	v_fma_f32 v13, v14, 2.0, -v9
	;; [unrolled: 1-line block ×4, first 2 shown]
	ds_write2_b64 v28, v[14:15], v[12:13] offset1:77
	ds_write2_b64 v28, v[10:11], v[8:9] offset0:154 offset1:231
	s_and_saveexec_b64 s[4:5], s[0:1]
	s_cbranch_execz .LBB0_17
; %bb.16:
	v_add_u32_e32 v8, 44, v24
	v_subrev_u32_e32 v9, 33, v24
	v_cndmask_b32_e64 v8, v9, v8, s[0:1]
	v_mul_i32_i24_e32 v8, 3, v8
	v_mov_b32_e32 v9, 0
	v_lshlrev_b64 v[8:9], 3, v[8:9]
	v_mov_b32_e32 v10, s9
	v_add_co_u32_e64 v12, s[0:1], s8, v8
	v_addc_co_u32_e64 v13, s[0:1], v10, v9, s[0:1]
	global_load_dwordx4 v[8:11], v[12:13], off offset:528
	global_load_dwordx2 v[14:15], v[12:13], off offset:544
	v_add_u32_e32 v12, 0x400, v28
	s_waitcnt vmcnt(1)
	v_mul_f32_e32 v13, v0, v11
	v_mul_f32_e32 v16, v7, v9
	s_waitcnt vmcnt(0)
	v_mul_f32_e32 v17, v3, v15
	v_mul_f32_e32 v11, v1, v11
	;; [unrolled: 1-line block ×4, first 2 shown]
	v_fma_f32 v1, v1, v10, -v13
	v_fmac_f32_e32 v16, v6, v8
	v_fmac_f32_e32 v17, v2, v14
	;; [unrolled: 1-line block ×3, first 2 shown]
	v_fma_f32 v2, v7, v8, -v9
	v_fma_f32 v0, v3, v14, -v15
	v_sub_f32_e32 v3, v5, v1
	v_sub_f32_e32 v6, v16, v17
	;; [unrolled: 1-line block ×4, first 2 shown]
	v_add_f32_e32 v0, v7, v8
	v_fma_f32 v9, v5, 2.0, -v3
	v_fma_f32 v5, v2, 2.0, -v8
	;; [unrolled: 1-line block ×4, first 2 shown]
	v_sub_f32_e32 v1, v3, v6
	v_sub_f32_e32 v5, v9, v5
	;; [unrolled: 1-line block ×3, first 2 shown]
	v_fma_f32 v3, v3, 2.0, -v1
	v_fma_f32 v2, v7, 2.0, -v0
	;; [unrolled: 1-line block ×4, first 2 shown]
	ds_write2_b64 v28, v[6:7], v[2:3] offset0:44 offset1:121
	ds_write2_b64 v12, v[4:5], v[0:1] offset0:70 offset1:147
.LBB0_17:
	s_or_b64 exec, exec, s[4:5]
	s_waitcnt lgkmcnt(0)
	; wave barrier
	s_waitcnt lgkmcnt(0)
	ds_read_b64 v[0:1], v28
	v_lshlrev_b32_e32 v2, 3, v24
	v_sub_u32_e32 v4, 0, v2
	v_cmp_ne_u32_e64 s[0:1], 0, v24
                                        ; implicit-def: $vgpr6
                                        ; implicit-def: $vgpr5
                                        ; implicit-def: $vgpr2_vgpr3
	s_and_saveexec_b64 s[4:5], s[0:1]
	s_xor_b64 s[4:5], exec, s[4:5]
	s_cbranch_execz .LBB0_19
; %bb.18:
	v_mov_b32_e32 v25, 0
	v_lshlrev_b64 v[2:3], 3, v[24:25]
	v_mov_b32_e32 v5, s9
	v_add_co_u32_e64 v2, s[0:1], s8, v2
	v_addc_co_u32_e64 v3, s[0:1], v5, v3, s[0:1]
	global_load_dwordx2 v[2:3], v[2:3], off offset:2376
	ds_read_b64 v[5:6], v4 offset:2464
	s_waitcnt lgkmcnt(0)
	v_add_f32_e32 v7, v5, v0
	v_add_f32_e32 v8, v6, v1
	v_sub_f32_e32 v0, v0, v5
	v_sub_f32_e32 v1, v1, v6
	v_mul_f32_e32 v6, 0.5, v8
	v_mul_f32_e32 v0, 0.5, v0
	;; [unrolled: 1-line block ×3, first 2 shown]
	s_waitcnt vmcnt(0)
	v_mul_f32_e32 v8, v3, v0
	v_fma_f32 v9, v6, v3, v1
	v_fma_f32 v1, v6, v3, -v1
	v_fma_f32 v5, 0.5, v7, v8
	v_fma_f32 v3, -v2, v0, v9
	v_fma_f32 v7, v7, 0.5, -v8
	v_fma_f32 v0, -v2, v0, v1
	v_fmac_f32_e32 v5, v2, v6
	ds_write_b32 v28, v3 offset:4
	v_fma_f32 v6, -v2, v6, v7
	v_mov_b32_e32 v2, v24
	ds_write_b32 v4, v0 offset:2468
	v_mov_b32_e32 v3, v25
                                        ; implicit-def: $vgpr0_vgpr1
.LBB0_19:
	s_andn2_saveexec_b64 s[0:1], s[4:5]
	s_cbranch_execz .LBB0_21
; %bb.20:
	v_mov_b32_e32 v7, 0
	ds_write_b32 v28, v7 offset:4
	ds_write_b32 v4, v7 offset:2468
	ds_read_b32 v2, v7 offset:1236
	s_waitcnt lgkmcnt(3)
	v_add_f32_e32 v5, v0, v1
	v_sub_f32_e32 v6, v0, v1
	s_waitcnt lgkmcnt(0)
	v_xor_b32_e32 v0, 0x80000000, v2
	v_mov_b32_e32 v2, 0
	v_mov_b32_e32 v3, 0
	ds_write_b32 v7, v0 offset:1236
.LBB0_21:
	s_or_b64 exec, exec, s[0:1]
	s_add_u32 s0, s8, 0x948
	s_waitcnt lgkmcnt(0)
	v_lshlrev_b64 v[0:1], 3, v[2:3]
	s_addc_u32 s1, s9, 0
	v_mov_b32_e32 v3, s1
	v_add_co_u32_e64 v2, s[0:1], s0, v0
	v_addc_co_u32_e64 v3, s[0:1], v3, v1, s[0:1]
	global_load_dwordx2 v[7:8], v[2:3], off offset:352
	global_load_dwordx2 v[9:10], v[2:3], off offset:704
	ds_write_b32 v28, v5
	ds_write_b32 v4, v6 offset:2464
	ds_read_b64 v[5:6], v28 offset:352
	ds_read_b64 v[11:12], v4 offset:2112
	v_cmp_gt_u32_e64 s[0:1], 22, v24
	s_waitcnt lgkmcnt(0)
	v_add_f32_e32 v13, v5, v11
	v_sub_f32_e32 v5, v5, v11
	v_add_f32_e32 v14, v6, v12
	v_sub_f32_e32 v6, v6, v12
	v_mul_f32_e32 v12, 0.5, v5
	v_mul_f32_e32 v11, 0.5, v14
	;; [unrolled: 1-line block ×3, first 2 shown]
	s_waitcnt vmcnt(1)
	v_mul_f32_e32 v14, v8, v12
	v_fma_f32 v6, v11, v8, v5
	v_fma_f32 v8, v11, v8, -v5
	v_fma_f32 v5, 0.5, v13, v14
	v_fma_f32 v6, -v7, v12, v6
	v_fma_f32 v13, v13, 0.5, -v14
	v_fmac_f32_e32 v5, v7, v11
	v_fma_f32 v8, -v7, v12, v8
	v_fma_f32 v7, -v7, v11, v13
	ds_write_b64 v28, v[5:6] offset:352
	ds_write_b64 v4, v[7:8] offset:2112
	ds_read_b64 v[5:6], v28 offset:704
	ds_read_b64 v[7:8], v4 offset:1760
	s_waitcnt lgkmcnt(0)
	v_add_f32_e32 v11, v5, v7
	v_sub_f32_e32 v5, v5, v7
	v_add_f32_e32 v12, v6, v8
	v_sub_f32_e32 v6, v6, v8
	v_mul_f32_e32 v8, 0.5, v5
	v_mul_f32_e32 v7, 0.5, v12
	;; [unrolled: 1-line block ×3, first 2 shown]
	s_waitcnt vmcnt(0)
	v_mul_f32_e32 v12, v10, v8
	v_fma_f32 v6, v7, v10, v5
	v_fma_f32 v10, v7, v10, -v5
	v_fma_f32 v5, 0.5, v11, v12
	v_fma_f32 v6, -v9, v8, v6
	v_fma_f32 v11, v11, 0.5, -v12
	v_fmac_f32_e32 v5, v9, v7
	v_fma_f32 v8, -v9, v8, v10
	v_fma_f32 v7, -v9, v7, v11
	ds_write_b64 v28, v[5:6] offset:704
	ds_write_b64 v4, v[7:8] offset:1760
	s_and_saveexec_b64 s[4:5], s[0:1]
	s_cbranch_execz .LBB0_23
; %bb.22:
	global_load_dwordx2 v[2:3], v[2:3], off offset:1056
	ds_read_b64 v[5:6], v28 offset:1056
	ds_read_b64 v[7:8], v4 offset:1408
	s_waitcnt lgkmcnt(0)
	v_add_f32_e32 v9, v5, v7
	v_sub_f32_e32 v5, v5, v7
	v_add_f32_e32 v10, v6, v8
	v_sub_f32_e32 v6, v6, v8
	v_mul_f32_e32 v8, 0.5, v5
	v_mul_f32_e32 v7, 0.5, v10
	;; [unrolled: 1-line block ×3, first 2 shown]
	s_waitcnt vmcnt(0)
	v_mul_f32_e32 v10, v3, v8
	v_fma_f32 v6, v7, v3, v5
	v_fma_f32 v3, v7, v3, -v5
	v_fma_f32 v5, 0.5, v9, v10
	v_fma_f32 v6, -v2, v8, v6
	v_fma_f32 v9, v9, 0.5, -v10
	v_fmac_f32_e32 v5, v2, v7
	v_fma_f32 v3, -v2, v8, v3
	v_fma_f32 v2, -v2, v7, v9
	ds_write_b64 v28, v[5:6] offset:1056
	ds_write_b64 v4, v[2:3] offset:1408
.LBB0_23:
	s_or_b64 exec, exec, s[4:5]
	s_waitcnt lgkmcnt(0)
	; wave barrier
	s_waitcnt lgkmcnt(0)
	s_and_saveexec_b64 s[0:1], vcc
	s_cbranch_execz .LBB0_26
; %bb.24:
	ds_read2_b64 v[4:7], v28 offset1:44
	v_mov_b32_e32 v3, s3
	v_add_co_u32_e32 v2, vcc, s2, v26
	ds_read2_b64 v[8:11], v28 offset0:88 offset1:132
	v_addc_co_u32_e32 v3, vcc, v3, v27, vcc
	v_add_co_u32_e32 v0, vcc, v2, v0
	ds_read2_b64 v[12:15], v28 offset0:176 offset1:220
	v_addc_co_u32_e32 v1, vcc, v3, v1, vcc
	s_waitcnt lgkmcnt(2)
	global_store_dwordx2 v[0:1], v[4:5], off
	ds_read_b64 v[4:5], v28 offset:2112
	v_cmp_eq_u32_e32 vcc, 43, v24
	global_store_dwordx2 v[0:1], v[6:7], off offset:352
	s_waitcnt lgkmcnt(2)
	global_store_dwordx2 v[0:1], v[8:9], off offset:704
	global_store_dwordx2 v[0:1], v[10:11], off offset:1056
	s_waitcnt lgkmcnt(1)
	global_store_dwordx2 v[0:1], v[12:13], off offset:1408
	;; [unrolled: 3-line block ×3, first 2 shown]
	s_and_b64 exec, exec, vcc
	s_cbranch_execz .LBB0_26
; %bb.25:
	v_mov_b32_e32 v0, 0
	ds_read_b64 v[0:1], v0 offset:2464
	s_waitcnt lgkmcnt(0)
	global_store_dwordx2 v[2:3], v[0:1], off offset:2464
.LBB0_26:
	s_endpgm
	.section	.rodata,"a",@progbits
	.p2align	6, 0x0
	.amdhsa_kernel fft_rtc_back_len308_factors_11_7_4_wgs_44_tpt_44_sp_ip_CI_unitstride_sbrr_R2C_dirReg
		.amdhsa_group_segment_fixed_size 0
		.amdhsa_private_segment_fixed_size 0
		.amdhsa_kernarg_size 88
		.amdhsa_user_sgpr_count 6
		.amdhsa_user_sgpr_private_segment_buffer 1
		.amdhsa_user_sgpr_dispatch_ptr 0
		.amdhsa_user_sgpr_queue_ptr 0
		.amdhsa_user_sgpr_kernarg_segment_ptr 1
		.amdhsa_user_sgpr_dispatch_id 0
		.amdhsa_user_sgpr_flat_scratch_init 0
		.amdhsa_user_sgpr_private_segment_size 0
		.amdhsa_uses_dynamic_stack 0
		.amdhsa_system_sgpr_private_segment_wavefront_offset 0
		.amdhsa_system_sgpr_workgroup_id_x 1
		.amdhsa_system_sgpr_workgroup_id_y 0
		.amdhsa_system_sgpr_workgroup_id_z 0
		.amdhsa_system_sgpr_workgroup_info 0
		.amdhsa_system_vgpr_workitem_id 0
		.amdhsa_next_free_vgpr 67
		.amdhsa_next_free_sgpr 22
		.amdhsa_reserve_vcc 1
		.amdhsa_reserve_flat_scratch 0
		.amdhsa_float_round_mode_32 0
		.amdhsa_float_round_mode_16_64 0
		.amdhsa_float_denorm_mode_32 3
		.amdhsa_float_denorm_mode_16_64 3
		.amdhsa_dx10_clamp 1
		.amdhsa_ieee_mode 1
		.amdhsa_fp16_overflow 0
		.amdhsa_exception_fp_ieee_invalid_op 0
		.amdhsa_exception_fp_denorm_src 0
		.amdhsa_exception_fp_ieee_div_zero 0
		.amdhsa_exception_fp_ieee_overflow 0
		.amdhsa_exception_fp_ieee_underflow 0
		.amdhsa_exception_fp_ieee_inexact 0
		.amdhsa_exception_int_div_zero 0
	.end_amdhsa_kernel
	.text
.Lfunc_end0:
	.size	fft_rtc_back_len308_factors_11_7_4_wgs_44_tpt_44_sp_ip_CI_unitstride_sbrr_R2C_dirReg, .Lfunc_end0-fft_rtc_back_len308_factors_11_7_4_wgs_44_tpt_44_sp_ip_CI_unitstride_sbrr_R2C_dirReg
                                        ; -- End function
	.section	.AMDGPU.csdata,"",@progbits
; Kernel info:
; codeLenInByte = 5756
; NumSgprs: 26
; NumVgprs: 67
; ScratchSize: 0
; MemoryBound: 0
; FloatMode: 240
; IeeeMode: 1
; LDSByteSize: 0 bytes/workgroup (compile time only)
; SGPRBlocks: 3
; VGPRBlocks: 16
; NumSGPRsForWavesPerEU: 26
; NumVGPRsForWavesPerEU: 67
; Occupancy: 3
; WaveLimiterHint : 1
; COMPUTE_PGM_RSRC2:SCRATCH_EN: 0
; COMPUTE_PGM_RSRC2:USER_SGPR: 6
; COMPUTE_PGM_RSRC2:TRAP_HANDLER: 0
; COMPUTE_PGM_RSRC2:TGID_X_EN: 1
; COMPUTE_PGM_RSRC2:TGID_Y_EN: 0
; COMPUTE_PGM_RSRC2:TGID_Z_EN: 0
; COMPUTE_PGM_RSRC2:TIDIG_COMP_CNT: 0
	.type	__hip_cuid_164ab932b06f1f1b,@object ; @__hip_cuid_164ab932b06f1f1b
	.section	.bss,"aw",@nobits
	.globl	__hip_cuid_164ab932b06f1f1b
__hip_cuid_164ab932b06f1f1b:
	.byte	0                               ; 0x0
	.size	__hip_cuid_164ab932b06f1f1b, 1

	.ident	"AMD clang version 19.0.0git (https://github.com/RadeonOpenCompute/llvm-project roc-6.4.0 25133 c7fe45cf4b819c5991fe208aaa96edf142730f1d)"
	.section	".note.GNU-stack","",@progbits
	.addrsig
	.addrsig_sym __hip_cuid_164ab932b06f1f1b
	.amdgpu_metadata
---
amdhsa.kernels:
  - .args:
      - .actual_access:  read_only
        .address_space:  global
        .offset:         0
        .size:           8
        .value_kind:     global_buffer
      - .offset:         8
        .size:           8
        .value_kind:     by_value
      - .actual_access:  read_only
        .address_space:  global
        .offset:         16
        .size:           8
        .value_kind:     global_buffer
      - .actual_access:  read_only
        .address_space:  global
        .offset:         24
        .size:           8
        .value_kind:     global_buffer
      - .offset:         32
        .size:           8
        .value_kind:     by_value
      - .actual_access:  read_only
        .address_space:  global
        .offset:         40
        .size:           8
        .value_kind:     global_buffer
      - .actual_access:  read_only
        .address_space:  global
        .offset:         48
        .size:           8
        .value_kind:     global_buffer
      - .offset:         56
        .size:           4
        .value_kind:     by_value
      - .actual_access:  read_only
        .address_space:  global
        .offset:         64
        .size:           8
        .value_kind:     global_buffer
      - .actual_access:  read_only
        .address_space:  global
        .offset:         72
        .size:           8
        .value_kind:     global_buffer
      - .address_space:  global
        .offset:         80
        .size:           8
        .value_kind:     global_buffer
    .group_segment_fixed_size: 0
    .kernarg_segment_align: 8
    .kernarg_segment_size: 88
    .language:       OpenCL C
    .language_version:
      - 2
      - 0
    .max_flat_workgroup_size: 44
    .name:           fft_rtc_back_len308_factors_11_7_4_wgs_44_tpt_44_sp_ip_CI_unitstride_sbrr_R2C_dirReg
    .private_segment_fixed_size: 0
    .sgpr_count:     26
    .sgpr_spill_count: 0
    .symbol:         fft_rtc_back_len308_factors_11_7_4_wgs_44_tpt_44_sp_ip_CI_unitstride_sbrr_R2C_dirReg.kd
    .uniform_work_group_size: 1
    .uses_dynamic_stack: false
    .vgpr_count:     67
    .vgpr_spill_count: 0
    .wavefront_size: 64
amdhsa.target:   amdgcn-amd-amdhsa--gfx906
amdhsa.version:
  - 1
  - 2
...

	.end_amdgpu_metadata
